;; amdgpu-corpus repo=ROCm/rocFFT kind=compiled arch=gfx906 opt=O3
	.text
	.amdgcn_target "amdgcn-amd-amdhsa--gfx906"
	.amdhsa_code_object_version 6
	.protected	bluestein_single_fwd_len270_dim1_sp_op_CI_CI ; -- Begin function bluestein_single_fwd_len270_dim1_sp_op_CI_CI
	.globl	bluestein_single_fwd_len270_dim1_sp_op_CI_CI
	.p2align	8
	.type	bluestein_single_fwd_len270_dim1_sp_op_CI_CI,@function
bluestein_single_fwd_len270_dim1_sp_op_CI_CI: ; @bluestein_single_fwd_len270_dim1_sp_op_CI_CI
; %bb.0:
	s_load_dwordx4 s[8:11], s[4:5], 0x28
	v_mul_u32_u24_e32 v1, 0x97c, v0
	v_lshrrev_b32_e32 v1, 16, v1
	v_lshl_add_u32 v78, s6, 2, v1
	v_mov_b32_e32 v79, 0
	s_waitcnt lgkmcnt(0)
	v_cmp_gt_u64_e32 vcc, s[8:9], v[78:79]
	s_and_saveexec_b64 s[0:1], vcc
	s_cbranch_execz .LBB0_26
; %bb.1:
	s_load_dwordx4 s[0:3], s[4:5], 0x18
	s_load_dwordx4 s[12:15], s[4:5], 0x0
	v_mul_lo_u16_e32 v2, 27, v1
	v_sub_u16_e32 v99, v0, v2
	v_lshlrev_b32_e32 v102, 3, v99
	s_waitcnt lgkmcnt(0)
	s_load_dwordx4 s[16:19], s[0:1], 0x0
                                        ; implicit-def: $vgpr38
	s_waitcnt lgkmcnt(0)
	v_mad_u64_u32 v[2:3], s[0:1], s18, v78, 0
	v_mad_u64_u32 v[4:5], s[0:1], s16, v99, 0
	v_mov_b32_e32 v0, v3
	v_mov_b32_e32 v3, v5
	v_mad_u64_u32 v[5:6], s[0:1], s19, v78, v[0:1]
	v_mad_u64_u32 v[6:7], s[0:1], s17, v99, v[3:4]
	v_mov_b32_e32 v3, v5
	v_lshlrev_b64 v[2:3], 3, v[2:3]
	v_mov_b32_e32 v0, s11
	v_mov_b32_e32 v5, v6
	v_add_co_u32_e32 v6, vcc, s10, v2
	v_addc_co_u32_e32 v0, vcc, v0, v3, vcc
	v_lshlrev_b64 v[2:3], 3, v[4:5]
	s_mul_i32 s0, s17, 0xd8
	v_add_co_u32_e32 v2, vcc, v6, v2
	s_mul_hi_u32 s1, s16, 0xd8
	v_addc_co_u32_e32 v3, vcc, v0, v3, vcc
	s_add_i32 s0, s1, s0
	s_mul_i32 s1, s16, 0xd8
	v_mov_b32_e32 v0, s0
	v_add_co_u32_e32 v4, vcc, s1, v2
	v_addc_co_u32_e32 v5, vcc, v3, v0, vcc
	v_add_co_u32_e32 v6, vcc, s1, v4
	v_addc_co_u32_e32 v7, vcc, v5, v0, vcc
	;; [unrolled: 2-line block ×3, first 2 shown]
	global_load_dwordx2 v[10:11], v[2:3], off
	global_load_dwordx2 v[12:13], v[4:5], off
	;; [unrolled: 1-line block ×4, first 2 shown]
	global_load_dwordx2 v[91:92], v102, s[12:13]
	global_load_dwordx2 v[89:90], v102, s[12:13] offset:216
	global_load_dwordx2 v[87:88], v102, s[12:13] offset:432
	;; [unrolled: 1-line block ×3, first 2 shown]
	v_add_co_u32_e32 v2, vcc, s1, v8
	v_addc_co_u32_e32 v3, vcc, v9, v0, vcc
	global_load_dwordx2 v[4:5], v[2:3], off
	v_add_co_u32_e32 v2, vcc, s1, v2
	v_addc_co_u32_e32 v3, vcc, v3, v0, vcc
	global_load_dwordx2 v[6:7], v[2:3], off
	global_load_dwordx2 v[76:77], v102, s[12:13] offset:864
	global_load_dwordx2 v[74:75], v102, s[12:13] offset:1080
	v_add_co_u32_e32 v2, vcc, s1, v2
	v_addc_co_u32_e32 v3, vcc, v3, v0, vcc
	global_load_dwordx2 v[8:9], v[2:3], off
	v_add_co_u32_e32 v2, vcc, s1, v2
	v_addc_co_u32_e32 v3, vcc, v3, v0, vcc
	global_load_dwordx2 v[18:19], v[2:3], off
	global_load_dwordx2 v[83:84], v102, s[12:13] offset:1296
	global_load_dwordx2 v[79:80], v102, s[12:13] offset:1512
	v_add_co_u32_e32 v2, vcc, s1, v2
	v_addc_co_u32_e32 v3, vcc, v3, v0, vcc
	global_load_dwordx2 v[20:21], v[2:3], off
	global_load_dwordx2 v[81:82], v102, s[12:13] offset:1728
	v_add_co_u32_e32 v2, vcc, s1, v2
	v_addc_co_u32_e32 v3, vcc, v3, v0, vcc
	global_load_dwordx2 v[85:86], v102, s[12:13] offset:1944
	global_load_dwordx2 v[22:23], v[2:3], off
	v_and_b32_e32 v0, 3, v1
	v_mul_u32_u24_e32 v0, 0x10e, v0
	v_lshlrev_b32_e32 v101, 3, v0
	v_add_u32_e32 v100, v101, v102
	s_load_dwordx4 s[8:11], s[2:3], 0x0
	s_mov_b32 s1, 0xbf737871
	s_load_dwordx2 s[2:3], s[4:5], 0x38
	s_mov_b32 s4, 0x3f737871
	s_mov_b32 s5, 0x3f167918
	;; [unrolled: 1-line block ×3, first 2 shown]
	s_waitcnt vmcnt(15)
	v_mul_f32_e32 v0, v11, v92
	v_mul_f32_e32 v1, v10, v92
	s_waitcnt vmcnt(14)
	v_mul_f32_e32 v2, v13, v90
	v_mul_f32_e32 v3, v12, v90
	v_fmac_f32_e32 v0, v10, v91
	v_fma_f32 v1, v11, v91, -v1
	v_fmac_f32_e32 v2, v12, v89
	v_fma_f32 v3, v13, v89, -v3
	ds_write2_b64 v100, v[0:1], v[2:3] offset1:27
	s_waitcnt vmcnt(13)
	v_mul_f32_e32 v0, v15, v88
	v_mul_f32_e32 v1, v14, v88
	s_waitcnt vmcnt(12)
	v_mul_f32_e32 v2, v17, v73
	v_mul_f32_e32 v3, v16, v73
	v_fmac_f32_e32 v0, v14, v87
	v_fma_f32 v1, v15, v87, -v1
	v_fmac_f32_e32 v2, v16, v72
	v_fma_f32 v3, v17, v72, -v3
	ds_write2_b64 v100, v[0:1], v[2:3] offset0:54 offset1:81
	s_waitcnt vmcnt(9)
	v_mul_f32_e32 v0, v5, v77
	v_mul_f32_e32 v1, v4, v77
	s_waitcnt vmcnt(8)
	v_mul_f32_e32 v2, v7, v75
	v_mul_f32_e32 v3, v6, v75
	v_fmac_f32_e32 v0, v4, v76
	v_fma_f32 v1, v5, v76, -v1
	v_fmac_f32_e32 v2, v6, v74
	v_fma_f32 v3, v7, v74, -v3
	ds_write2_b64 v100, v[0:1], v[2:3] offset0:108 offset1:135
	;; [unrolled: 11-line block ×4, first 2 shown]
	s_waitcnt lgkmcnt(0)
	s_barrier
	ds_read2_b64 v[0:3], v100 offset1:27
	ds_read2_b64 v[4:7], v100 offset0:54 offset1:81
	ds_read2_b64 v[8:11], v100 offset0:108 offset1:135
	ds_read2_b64 v[12:15], v100 offset0:162 offset1:189
	ds_read2_b64 v[16:19], v100 offset0:216 offset1:243
	s_waitcnt lgkmcnt(0)
	v_add_f32_e32 v20, v0, v4
	v_sub_f32_e32 v25, v4, v8
	v_add_f32_e32 v21, v8, v12
	v_fma_f32 v21, -0.5, v21, v0
	v_sub_f32_e32 v22, v5, v17
	v_mov_b32_e32 v23, v21
	v_fmac_f32_e32 v23, 0x3f737871, v22
	v_sub_f32_e32 v24, v9, v13
	v_sub_f32_e32 v26, v16, v12
	v_fmac_f32_e32 v21, 0xbf737871, v22
	v_fmac_f32_e32 v23, 0x3f167918, v24
	v_add_f32_e32 v25, v25, v26
	v_fmac_f32_e32 v21, 0xbf167918, v24
	v_fmac_f32_e32 v23, 0x3e9e377a, v25
	;; [unrolled: 1-line block ×3, first 2 shown]
	v_add_f32_e32 v25, v4, v16
	v_fma_f32 v25, -0.5, v25, v0
	v_mov_b32_e32 v26, v25
	v_fmac_f32_e32 v26, 0xbf737871, v24
	v_sub_f32_e32 v0, v8, v4
	v_sub_f32_e32 v27, v12, v16
	v_fmac_f32_e32 v25, 0x3f737871, v24
	v_fmac_f32_e32 v26, 0x3f167918, v22
	v_add_f32_e32 v0, v0, v27
	v_fmac_f32_e32 v25, 0xbf167918, v22
	v_fmac_f32_e32 v26, 0x3e9e377a, v0
	;; [unrolled: 1-line block ×3, first 2 shown]
	v_add_f32_e32 v0, v1, v5
	v_add_f32_e32 v0, v0, v9
	;; [unrolled: 1-line block ×7, first 2 shown]
	v_fma_f32 v24, -0.5, v0, v1
	v_add_f32_e32 v20, v20, v16
	v_sub_f32_e32 v0, v4, v16
	v_mov_b32_e32 v16, v24
	v_fmac_f32_e32 v16, 0xbf737871, v0
	v_sub_f32_e32 v4, v8, v12
	v_sub_f32_e32 v8, v5, v9
	;; [unrolled: 1-line block ×3, first 2 shown]
	v_fmac_f32_e32 v24, 0x3f737871, v0
	v_fmac_f32_e32 v16, 0xbf167918, v4
	v_add_f32_e32 v8, v8, v12
	v_fmac_f32_e32 v24, 0x3f167918, v4
	v_fmac_f32_e32 v16, 0x3e9e377a, v8
	;; [unrolled: 1-line block ×3, first 2 shown]
	v_add_f32_e32 v8, v5, v17
	v_fma_f32 v27, -0.5, v8, v1
	v_mov_b32_e32 v28, v27
	v_fmac_f32_e32 v28, 0x3f737871, v4
	v_fmac_f32_e32 v27, 0xbf737871, v4
	;; [unrolled: 1-line block ×4, first 2 shown]
	v_add_f32_e32 v0, v2, v6
	v_add_f32_e32 v0, v0, v10
	;; [unrolled: 1-line block ×3, first 2 shown]
	v_sub_f32_e32 v1, v9, v5
	v_sub_f32_e32 v5, v13, v17
	v_add_f32_e32 v12, v0, v18
	v_add_f32_e32 v0, v10, v14
	;; [unrolled: 1-line block ×3, first 2 shown]
	v_fma_f32 v9, -0.5, v0, v2
	v_fmac_f32_e32 v28, 0x3e9e377a, v1
	v_fmac_f32_e32 v27, 0x3e9e377a, v1
	v_sub_f32_e32 v0, v7, v19
	v_mov_b32_e32 v1, v9
	v_fmac_f32_e32 v1, 0x3f737871, v0
	v_sub_f32_e32 v4, v11, v15
	v_sub_f32_e32 v5, v6, v10
	;; [unrolled: 1-line block ×3, first 2 shown]
	v_fmac_f32_e32 v9, 0xbf737871, v0
	v_fmac_f32_e32 v1, 0x3f167918, v4
	v_add_f32_e32 v5, v5, v8
	v_fmac_f32_e32 v9, 0xbf167918, v4
	v_fmac_f32_e32 v1, 0x3e9e377a, v5
	;; [unrolled: 1-line block ×3, first 2 shown]
	v_add_f32_e32 v5, v6, v18
	v_fma_f32 v13, -0.5, v5, v2
	v_mov_b32_e32 v17, v13
	v_fmac_f32_e32 v17, 0xbf737871, v4
	v_fmac_f32_e32 v13, 0x3f737871, v4
	;; [unrolled: 1-line block ×4, first 2 shown]
	v_add_f32_e32 v0, v3, v7
	v_add_f32_e32 v0, v0, v11
	;; [unrolled: 1-line block ×5, first 2 shown]
	v_sub_f32_e32 v2, v10, v6
	v_sub_f32_e32 v5, v14, v18
	v_fma_f32 v30, -0.5, v0, v3
	v_add_f32_e32 v2, v2, v5
	v_sub_f32_e32 v0, v6, v18
	v_mov_b32_e32 v18, v30
	v_fmac_f32_e32 v17, 0x3e9e377a, v2
	v_fmac_f32_e32 v13, 0x3e9e377a, v2
	;; [unrolled: 1-line block ×3, first 2 shown]
	v_sub_f32_e32 v2, v10, v14
	v_sub_f32_e32 v4, v7, v11
	;; [unrolled: 1-line block ×3, first 2 shown]
	v_fmac_f32_e32 v30, 0x3f737871, v0
	v_fmac_f32_e32 v18, 0xbf167918, v2
	v_add_f32_e32 v4, v4, v5
	v_fmac_f32_e32 v30, 0x3f167918, v2
	v_fmac_f32_e32 v18, 0x3e9e377a, v4
	;; [unrolled: 1-line block ×3, first 2 shown]
	v_add_f32_e32 v4, v7, v19
	v_fmac_f32_e32 v3, -0.5, v4
	v_mov_b32_e32 v10, v3
	v_fmac_f32_e32 v10, 0x3f737871, v2
	v_sub_f32_e32 v4, v11, v7
	v_sub_f32_e32 v5, v15, v19
	v_fmac_f32_e32 v10, 0xbf167918, v0
	v_add_f32_e32 v4, v4, v5
	v_fmac_f32_e32 v3, 0xbf737871, v2
	v_fmac_f32_e32 v10, 0x3e9e377a, v4
	v_fmac_f32_e32 v3, 0x3f167918, v0
	v_fmac_f32_e32 v3, 0x3e9e377a, v4
	v_mul_f32_e32 v14, 0x3f737871, v10
	v_mul_f32_e32 v2, 0x3e9e377a, v13
	;; [unrolled: 1-line block ×4, first 2 shown]
	v_fmac_f32_e32 v14, 0x3e9e377a, v17
	v_fma_f32 v15, v3, s4, -v2
	v_fmac_f32_e32 v31, 0x3f4f1bbd, v18
	v_mul_f32_e32 v17, 0xbf737871, v17
	v_mul_f32_e32 v3, 0x3e9e377a, v3
	v_fmac_f32_e32 v11, 0x3f167918, v18
	v_mul_f32_e32 v5, 0x3f4f1bbd, v9
	v_add_f32_e32 v7, v16, v31
	v_fmac_f32_e32 v17, 0x3e9e377a, v10
	v_fma_f32 v18, v13, s1, -v3
	v_mul_f32_e32 v10, 0x3f4f1bbd, v30
	v_sub_f32_e32 v13, v16, v31
	v_mul_lo_u16_e32 v16, 10, v99
	v_add_f32_e32 v4, v20, v12
	v_add_f32_e32 v6, v23, v11
	v_fma_f32 v19, v30, s5, -v5
	v_add_f32_e32 v5, v22, v29
	v_fma_f32 v33, v9, s0, -v10
	v_lshl_add_u32 v104, v16, 3, v101
	v_add_f32_e32 v0, v26, v14
	v_add_f32_e32 v2, v25, v15
	;; [unrolled: 1-line block ×6, first 2 shown]
	v_sub_f32_e32 v10, v20, v12
	v_sub_f32_e32 v12, v23, v11
	;; [unrolled: 1-line block ×9, first 2 shown]
	s_barrier
	ds_write_b128 v104, v[4:7]
	ds_write_b128 v104, v[0:3] offset:16
	ds_write_b128 v104, v[8:11] offset:32
	;; [unrolled: 1-line block ×4, first 2 shown]
	s_waitcnt lgkmcnt(0)
	s_barrier
	ds_read2_b64 v[20:23], v100 offset1:27
	ds_read2_b64 v[16:19], v100 offset0:54 offset1:90
	ds_read2_b64 v[24:27], v100 offset0:180 offset1:207
	ds_read2_b64 v[34:37], v100 offset0:117 offset1:144
	ds_read_b64 v[40:41], v100 offset:1872
	v_cmp_gt_u16_e64 s[0:1], 9, v99
                                        ; implicit-def: $vgpr30
	s_and_saveexec_b64 s[4:5], s[0:1]
	s_cbranch_execz .LBB0_3
; %bb.2:
	ds_read2_b64 v[28:31], v100 offset0:81 offset1:171
	ds_read_b64 v[38:39], v100 offset:2088
	s_waitcnt lgkmcnt(1)
	v_mov_b32_e32 v32, v28
	v_mov_b32_e32 v33, v29
.LBB0_3:
	s_or_b64 exec, exec, s[4:5]
	v_add_co_u32_e32 v93, vcc, 27, v99
	v_addc_co_u32_e64 v94, s[4:5], 0, 0, vcc
	v_add_co_u32_e32 v46, vcc, 54, v99
	v_addc_co_u32_e64 v47, s[4:5], 0, 0, vcc
	s_movk_i32 s4, 0xcd
	v_mul_lo_u16_sdwa v0, v93, s4 dst_sel:DWORD dst_unused:UNUSED_PAD src0_sel:BYTE_0 src1_sel:DWORD
	v_add_co_u32_e32 v111, vcc, 0x51, v99
	v_mul_lo_u16_sdwa v8, v99, s4 dst_sel:DWORD dst_unused:UNUSED_PAD src0_sel:BYTE_0 src1_sel:DWORD
	v_lshrrev_b16_e32 v42, 11, v0
	v_mul_lo_u16_sdwa v0, v46, s4 dst_sel:DWORD dst_unused:UNUSED_PAD src0_sel:BYTE_0 src1_sel:DWORD
	v_mul_lo_u16_sdwa v9, v111, s4 dst_sel:DWORD dst_unused:UNUSED_PAD src0_sel:BYTE_0 src1_sel:DWORD
	v_lshrrev_b16_e32 v52, 11, v8
	v_lshrrev_b16_e32 v43, 11, v0
	;; [unrolled: 1-line block ×3, first 2 shown]
	v_mul_lo_u16_e32 v9, 10, v52
	v_mul_lo_u16_e32 v0, 10, v43
	;; [unrolled: 1-line block ×4, first 2 shown]
	v_sub_u16_e32 v53, v99, v9
	v_mov_b32_e32 v4, 4
	v_sub_u16_e32 v44, v46, v0
	v_sub_u16_e32 v45, v93, v5
	;; [unrolled: 1-line block ×3, first 2 shown]
	v_lshlrev_b16_e32 v8, 1, v53
	v_lshlrev_b32_sdwa v0, v4, v44 dst_sel:DWORD dst_unused:UNUSED_PAD src0_sel:DWORD src1_sel:BYTE_0
	v_lshlrev_b32_sdwa v4, v4, v45 dst_sel:DWORD dst_unused:UNUSED_PAD src0_sel:DWORD src1_sel:BYTE_0
	v_and_b32_e32 v8, 0xfe, v8
	global_load_dwordx4 v[0:3], v0, s[14:15]
	v_lshlrev_b16_e32 v9, 1, v103
	global_load_dwordx4 v[4:7], v4, s[14:15]
	v_lshlrev_b32_e32 v8, 3, v8
	v_and_b32_e32 v9, 0xfe, v9
	global_load_dwordx4 v[12:15], v8, s[14:15]
	v_lshlrev_b32_e32 v8, 3, v9
	global_load_dwordx4 v[8:11], v8, s[14:15]
	s_waitcnt vmcnt(0) lgkmcnt(0)
	s_barrier
	v_addc_co_u32_e64 v112, s[4:5], 0, 0, vcc
	v_mul_f32_e32 v55, v40, v3
	v_mul_f32_e32 v28, v37, v1
	;; [unrolled: 1-line block ×6, first 2 shown]
	v_fma_f32 v34, v34, v4, -v29
	v_fmac_f32_e32 v49, v35, v4
	v_fma_f32 v35, v26, v6, -v50
	v_mul_f32_e32 v26, v25, v15
	v_mul_f32_e32 v29, v19, v13
	;; [unrolled: 1-line block ×3, first 2 shown]
	v_fmac_f32_e32 v51, v27, v6
	v_fmac_f32_e32 v55, v41, v2
	v_mul_f32_e32 v27, v24, v15
	v_mul_f32_e32 v41, v18, v13
	v_fma_f32 v24, v24, v14, -v26
	v_fma_f32 v18, v18, v12, -v29
	v_mul_f32_e32 v48, v36, v1
	v_fma_f32 v36, v36, v0, -v28
	v_mul_f32_e32 v28, v31, v9
	v_fmac_f32_e32 v27, v25, v14
	v_fmac_f32_e32 v41, v19, v12
	v_add_f32_e32 v29, v18, v24
	v_fma_f32 v59, v30, v8, -v28
	v_add_f32_e32 v26, v41, v27
	v_add_f32_e32 v28, v20, v18
	v_fma_f32 v20, -0.5, v29, v20
	v_sub_f32_e32 v19, v41, v27
	v_add_f32_e32 v25, v21, v41
	v_fma_f32 v21, -0.5, v26, v21
	v_mov_b32_e32 v26, v20
	v_fmac_f32_e32 v20, 0xbf5db3d7, v19
	v_fmac_f32_e32 v26, 0x3f5db3d7, v19
	v_add_f32_e32 v19, v23, v49
	v_add_f32_e32 v29, v19, v51
	;; [unrolled: 1-line block ×3, first 2 shown]
	v_fmac_f32_e32 v48, v37, v0
	v_fma_f32 v37, v40, v2, -v54
	v_mul_f32_e32 v40, v30, v9
	v_sub_f32_e32 v30, v18, v24
	v_add_f32_e32 v25, v25, v27
	v_mov_b32_e32 v27, v21
	v_fmac_f32_e32 v23, -0.5, v19
	v_fmac_f32_e32 v21, 0x3f5db3d7, v30
	v_fmac_f32_e32 v27, 0xbf5db3d7, v30
	v_sub_f32_e32 v30, v34, v35
	v_mov_b32_e32 v19, v23
	v_fmac_f32_e32 v19, 0xbf5db3d7, v30
	v_fmac_f32_e32 v23, 0x3f5db3d7, v30
	v_add_f32_e32 v30, v36, v37
	v_fmac_f32_e32 v40, v31, v8
	v_add_f32_e32 v31, v16, v36
	v_fma_f32 v16, -0.5, v30, v16
	v_add_f32_e32 v56, v22, v34
	v_add_f32_e32 v57, v34, v35
	v_sub_f32_e32 v34, v48, v55
	v_mov_b32_e32 v30, v16
	v_fmac_f32_e32 v30, 0x3f5db3d7, v34
	v_fmac_f32_e32 v16, 0xbf5db3d7, v34
	v_add_f32_e32 v34, v31, v37
	v_add_f32_e32 v31, v17, v48
	v_mul_f32_e32 v50, v39, v11
	v_add_f32_e32 v24, v28, v24
	v_add_f32_e32 v28, v56, v35
	;; [unrolled: 1-line block ×4, first 2 shown]
	v_mul_f32_e32 v54, v38, v11
	v_fma_f32 v38, v38, v10, -v50
	v_fmac_f32_e32 v17, -0.5, v31
	v_sub_f32_e32 v36, v36, v37
	v_mov_b32_e32 v31, v17
	v_add_f32_e32 v37, v59, v38
	v_fmac_f32_e32 v54, v39, v10
	v_fmac_f32_e32 v31, 0xbf5db3d7, v36
	;; [unrolled: 1-line block ×3, first 2 shown]
	v_add_f32_e32 v36, v32, v59
	v_fmac_f32_e32 v32, -0.5, v37
	v_add_f32_e32 v48, v36, v38
	v_mov_b32_e32 v50, v32
	v_sub_f32_e32 v36, v40, v54
	v_fmac_f32_e32 v50, 0x3f5db3d7, v36
	v_fmac_f32_e32 v32, 0xbf5db3d7, v36
	v_add_f32_e32 v36, v33, v40
	v_sub_f32_e32 v58, v49, v51
	v_add_f32_e32 v49, v36, v54
	v_add_f32_e32 v36, v40, v54
	v_fmac_f32_e32 v33, -0.5, v36
	v_sub_f32_e32 v36, v59, v38
	v_mov_b32_e32 v51, v33
	v_fmac_f32_e32 v51, 0xbf5db3d7, v36
	v_fmac_f32_e32 v33, 0x3f5db3d7, v36
	v_mad_legacy_u16 v36, v52, 30, v53
	v_and_b32_e32 v36, 0xff, v36
	v_lshl_add_u32 v106, v36, 3, v101
	ds_write2_b64 v106, v[24:25], v[26:27] offset1:10
	ds_write_b64 v106, v[20:21] offset:160
	v_mul_lo_u16_e32 v20, 30, v42
	v_fma_f32 v22, -0.5, v57, v22
	v_and_b32_e32 v20, 0xfe, v20
	v_mov_b32_e32 v18, v22
	v_add_u32_sdwa v20, v20, v45 dst_sel:DWORD dst_unused:UNUSED_PAD src0_sel:DWORD src1_sel:BYTE_0
	v_fmac_f32_e32 v18, 0x3f5db3d7, v58
	v_lshl_add_u32 v107, v20, 3, v101
	v_fmac_f32_e32 v22, 0xbf5db3d7, v58
	ds_write2_b64 v107, v[28:29], v[18:19] offset1:10
	ds_write_b64 v107, v[22:23] offset:160
	v_mul_u32_u24_e32 v18, 30, v43
	v_add_u32_sdwa v18, v18, v44 dst_sel:DWORD dst_unused:UNUSED_PAD src0_sel:DWORD src1_sel:BYTE_0
	v_lshl_add_u32 v108, v18, 3, v101
	ds_write2_b64 v108, v[34:35], v[30:31] offset1:10
	ds_write_b64 v108, v[16:17] offset:160
	s_and_saveexec_b64 s[4:5], s[0:1]
	s_cbranch_execz .LBB0_5
; %bb.4:
	v_and_b32_e32 v16, 0xff, v103
	v_lshl_add_u32 v16, v16, 3, v101
	ds_write2_b64 v16, v[48:49], v[50:51] offset0:240 offset1:250
	ds_write_b64 v16, v[32:33] offset:2080
.LBB0_5:
	s_or_b64 exec, exec, s[4:5]
	s_waitcnt lgkmcnt(0)
	s_barrier
	ds_read2_b64 v[38:41], v100 offset1:27
	ds_read2_b64 v[34:37], v100 offset0:54 offset1:90
	ds_read2_b64 v[42:45], v100 offset0:180 offset1:207
	;; [unrolled: 1-line block ×3, first 2 shown]
	ds_read_b64 v[56:57], v100 offset:1872
	s_and_saveexec_b64 s[4:5], s[0:1]
	s_cbranch_execz .LBB0_7
; %bb.6:
	ds_read2_b64 v[48:51], v100 offset0:81 offset1:171
	ds_read_b64 v[32:33], v100 offset:2088
.LBB0_7:
	s_or_b64 exec, exec, s[4:5]
	v_add_co_u32_e32 v20, vcc, -3, v99
	s_movk_i32 s6, 0x89
	v_addc_co_u32_e64 v21, s[4:5], 0, -1, vcc
	v_cmp_gt_u16_e32 vcc, 3, v99
	v_cndmask_b32_e32 v59, v20, v93, vcc
	v_mul_lo_u16_sdwa v20, v46, s6 dst_sel:DWORD dst_unused:UNUSED_PAD src0_sel:BYTE_0 src1_sel:DWORD
	v_cndmask_b32_e32 v60, v21, v94, vcc
	v_lshrrev_b16_e32 v63, 12, v20
	v_lshlrev_b64 v[20:21], 4, v[59:60]
	v_mul_lo_u16_sdwa v28, v111, s6 dst_sel:DWORD dst_unused:UNUSED_PAD src0_sel:BYTE_0 src1_sel:DWORD
	v_lshlrev_b32_e32 v61, 4, v99
	v_mov_b32_e32 v62, s15
	v_add_co_u32_e32 v20, vcc, s14, v20
	v_lshrrev_b16_e32 v28, 12, v28
	global_load_dwordx4 v[16:19], v61, s[14:15] offset:160
	v_addc_co_u32_e32 v21, vcc, v62, v21, vcc
	global_load_dwordx4 v[24:27], v[20:21], off offset:160
	v_mul_lo_u16_e32 v28, 30, v28
	v_mul_lo_u16_e32 v20, 30, v63
	v_sub_u16_e32 v105, v111, v28
	v_mov_b32_e32 v22, 4
	v_sub_u16_e32 v60, v46, v20
	v_and_b32_e32 v58, 0xff, v105
	v_lshlrev_b32_sdwa v20, v22, v60 dst_sel:DWORD dst_unused:UNUSED_PAD src0_sel:DWORD src1_sel:BYTE_0
	v_lshlrev_b32_e32 v28, 4, v58
	global_load_dwordx4 v[20:23], v20, s[14:15] offset:160
	v_add_co_u32_e32 v97, vcc, s14, v61
	global_load_dwordx4 v[28:31], v28, s[14:15] offset:160
	v_addc_co_u32_e32 v98, vcc, 0, v62, vcc
	s_waitcnt vmcnt(0) lgkmcnt(0)
	s_barrier
	v_cmp_lt_u16_e32 vcc, 2, v99
	v_mov_b32_e32 v96, s13
	v_mul_f32_e32 v61, v37, v17
	v_mul_f32_e32 v62, v36, v17
	;; [unrolled: 1-line block ×4, first 2 shown]
	v_fma_f32 v36, v36, v16, -v61
	v_fmac_f32_e32 v62, v37, v16
	v_fma_f32 v37, v42, v18, -v64
	v_fmac_f32_e32 v65, v43, v18
	v_add_f32_e32 v42, v38, v36
	v_add_f32_e32 v64, v39, v62
	v_add_f32_e32 v43, v36, v37
	v_sub_f32_e32 v61, v62, v65
	v_add_f32_e32 v62, v62, v65
	v_sub_f32_e32 v66, v36, v37
	v_add_f32_e32 v36, v42, v37
	v_add_f32_e32 v37, v64, v65
	v_mul_f32_e32 v64, v52, v25
	v_mul_f32_e32 v67, v44, v27
	v_fma_f32 v38, -0.5, v43, v38
	v_fma_f32 v39, -0.5, v62, v39
	v_mul_f32_e32 v65, v45, v27
	v_mul_f32_e32 v69, v54, v21
	;; [unrolled: 1-line block ×3, first 2 shown]
	v_fmac_f32_e32 v64, v53, v24
	v_fmac_f32_e32 v67, v45, v26
	v_mul_f32_e32 v45, v33, v31
	v_mov_b32_e32 v42, v38
	v_mov_b32_e32 v43, v39
	v_mul_f32_e32 v62, v53, v25
	v_mul_f32_e32 v68, v55, v21
	v_fmac_f32_e32 v69, v55, v20
	v_fma_f32 v55, v56, v22, -v70
	v_fma_f32 v70, v32, v30, -v45
	v_add_f32_e32 v45, v64, v67
	v_fmac_f32_e32 v38, 0xbf5db3d7, v61
	v_fmac_f32_e32 v39, 0x3f5db3d7, v66
	;; [unrolled: 1-line block ×4, first 2 shown]
	v_fma_f32 v52, v52, v24, -v62
	v_fma_f32 v53, v44, v26, -v65
	;; [unrolled: 1-line block ×3, first 2 shown]
	v_mul_f32_e32 v44, v51, v29
	v_mul_f32_e32 v61, v50, v29
	v_add_f32_e32 v66, v41, v64
	v_fmac_f32_e32 v41, -0.5, v45
	v_mul_f32_e32 v71, v56, v23
	v_fma_f32 v68, v50, v28, -v44
	v_fmac_f32_e32 v61, v51, v28
	v_sub_f32_e32 v50, v52, v53
	v_mov_b32_e32 v45, v41
	v_add_f32_e32 v51, v54, v55
	v_fmac_f32_e32 v71, v57, v22
	v_add_f32_e32 v56, v40, v52
	v_fmac_f32_e32 v45, 0xbf5db3d7, v50
	v_fmac_f32_e32 v41, 0x3f5db3d7, v50
	v_add_f32_e32 v50, v34, v54
	v_fma_f32 v34, -0.5, v51, v34
	v_mul_f32_e32 v62, v32, v31
	v_add_f32_e32 v57, v52, v53
	v_add_f32_e32 v32, v56, v53
	v_sub_f32_e32 v51, v69, v71
	v_mov_b32_e32 v56, v34
	v_add_f32_e32 v52, v69, v71
	v_fmac_f32_e32 v56, 0x3f5db3d7, v51
	v_fmac_f32_e32 v34, 0xbf5db3d7, v51
	v_add_f32_e32 v51, v35, v69
	v_fmac_f32_e32 v35, -0.5, v52
	ds_write2_b64 v100, v[36:37], v[42:43] offset1:30
	ds_write_b64 v100, v[38:39] offset:480
	v_mov_b32_e32 v36, 0x5a
	v_fma_f32 v40, -0.5, v57, v40
	v_sub_f32_e32 v52, v54, v55
	v_mov_b32_e32 v57, v35
	v_add_f32_e32 v53, v68, v70
	v_cndmask_b32_e32 v36, 0, v36, vcc
	v_sub_f32_e32 v65, v64, v67
	v_fmac_f32_e32 v62, v33, v30
	v_mov_b32_e32 v44, v40
	v_fmac_f32_e32 v57, 0xbf5db3d7, v52
	v_fmac_f32_e32 v35, 0x3f5db3d7, v52
	v_add_f32_e32 v52, v48, v68
	v_fmac_f32_e32 v48, -0.5, v53
	v_add_u32_e32 v36, v59, v36
	v_fmac_f32_e32 v44, 0x3f5db3d7, v65
	v_add_f32_e32 v33, v66, v67
	v_add_f32_e32 v50, v50, v55
	v_sub_f32_e32 v53, v61, v62
	v_mov_b32_e32 v54, v48
	v_add_f32_e32 v55, v61, v62
	v_lshl_add_u32 v109, v36, 3, v101
	v_fmac_f32_e32 v40, 0xbf5db3d7, v65
	v_fmac_f32_e32 v54, 0x3f5db3d7, v53
	;; [unrolled: 1-line block ×3, first 2 shown]
	v_add_f32_e32 v53, v49, v61
	v_fmac_f32_e32 v49, -0.5, v55
	ds_write2_b64 v109, v[32:33], v[44:45] offset1:30
	ds_write_b64 v109, v[40:41] offset:480
	v_mul_u32_u24_e32 v32, 0x5a, v63
	v_sub_f32_e32 v61, v68, v70
	v_mov_b32_e32 v55, v49
	v_add_u32_sdwa v32, v32, v60 dst_sel:DWORD dst_unused:UNUSED_PAD src0_sel:DWORD src1_sel:BYTE_0
	v_add_f32_e32 v51, v51, v71
	v_add_f32_e32 v52, v52, v70
	;; [unrolled: 1-line block ×3, first 2 shown]
	v_fmac_f32_e32 v55, 0xbf5db3d7, v61
	v_fmac_f32_e32 v49, 0x3f5db3d7, v61
	v_lshl_add_u32 v110, v32, 3, v101
	ds_write2_b64 v110, v[50:51], v[56:57] offset1:30
	ds_write_b64 v110, v[34:35] offset:480
	s_and_saveexec_b64 s[4:5], s[0:1]
	s_cbranch_execz .LBB0_9
; %bb.8:
	v_lshl_add_u32 v32, v58, 3, v101
	ds_write2_b64 v32, v[52:53], v[54:55] offset0:180 offset1:210
	ds_write_b64 v32, v[48:49] offset:1920
.LBB0_9:
	s_or_b64 exec, exec, s[4:5]
	s_waitcnt lgkmcnt(0)
	s_barrier
	ds_read2_b64 v[60:63], v100 offset1:27
	ds_read2_b64 v[56:59], v100 offset0:54 offset1:90
	ds_read2_b64 v[64:67], v100 offset0:180 offset1:207
	;; [unrolled: 1-line block ×3, first 2 shown]
	ds_read_b64 v[50:51], v100 offset:1872
	v_add_co_u32_e32 v95, vcc, s12, v102
	v_addc_co_u32_e32 v96, vcc, 0, v96, vcc
	s_and_saveexec_b64 s[4:5], s[0:1]
	s_cbranch_execz .LBB0_11
; %bb.10:
	ds_read2_b64 v[52:55], v100 offset0:81 offset1:171
	ds_read_b64 v[48:49], v100 offset:2088
.LBB0_11:
	s_or_b64 exec, exec, s[4:5]
	v_lshlrev_b64 v[32:33], 4, v[93:94]
	v_mov_b32_e32 v93, s15
	v_lshlrev_b64 v[34:35], 4, v[46:47]
	v_add_co_u32_e32 v32, vcc, s14, v32
	v_addc_co_u32_e32 v33, vcc, v93, v33, vcc
	global_load_dwordx4 v[36:39], v[97:98], off offset:640
	global_load_dwordx4 v[44:47], v[32:33], off offset:640
	v_add_co_u32_e32 v32, vcc, s14, v34
	v_addc_co_u32_e32 v33, vcc, v93, v35, vcc
	global_load_dwordx4 v[40:43], v[32:33], off offset:640
	v_add_co_u32_e32 v32, vcc, -9, v99
	v_addc_co_u32_e64 v33, s[4:5], 0, -1, vcc
	v_cndmask_b32_e64 v33, v33, v112, s[0:1]
	v_cndmask_b32_e64 v32, v32, v111, s[0:1]
	v_lshlrev_b64 v[32:33], 4, v[32:33]
	v_add_co_u32_e32 v32, vcc, s14, v32
	v_addc_co_u32_e32 v33, vcc, v93, v33, vcc
	global_load_dwordx4 v[32:35], v[32:33], off offset:640
	s_waitcnt vmcnt(3) lgkmcnt(3)
	v_mul_f32_e32 v93, v59, v37
	v_mul_f32_e32 v94, v58, v37
	s_waitcnt lgkmcnt(2)
	v_mul_f32_e32 v97, v65, v39
	v_mul_f32_e32 v98, v64, v39
	v_fma_f32 v58, v58, v36, -v93
	v_fmac_f32_e32 v94, v59, v36
	v_fma_f32 v59, v64, v38, -v97
	v_fmac_f32_e32 v98, v65, v38
	v_add_f32_e32 v65, v58, v59
	v_add_f32_e32 v64, v60, v58
	v_sub_f32_e32 v111, v58, v59
	s_waitcnt vmcnt(2) lgkmcnt(1)
	v_mul_f32_e32 v58, v69, v45
	v_mul_f32_e32 v112, v68, v45
	;; [unrolled: 1-line block ×3, first 2 shown]
	v_fma_f32 v60, -0.5, v65, v60
	v_sub_f32_e32 v93, v94, v98
	v_mul_f32_e32 v114, v66, v47
	v_fma_f32 v68, v68, v44, -v58
	v_fmac_f32_e32 v112, v69, v44
	v_fma_f32 v69, v66, v46, -v113
	v_mov_b32_e32 v66, v60
	v_add_f32_e32 v97, v61, v94
	v_add_f32_e32 v94, v94, v98
	s_waitcnt vmcnt(1)
	v_mul_f32_e32 v115, v71, v41
	v_mul_f32_e32 v116, v70, v41
	v_fmac_f32_e32 v60, 0xbf5db3d7, v93
	v_fmac_f32_e32 v66, 0x3f5db3d7, v93
	v_add_f32_e32 v93, v68, v69
	s_waitcnt lgkmcnt(0)
	v_mul_f32_e32 v117, v51, v43
	v_mul_f32_e32 v118, v50, v43
	v_fma_f32 v61, -0.5, v94, v61
	v_fmac_f32_e32 v114, v67, v46
	v_fma_f32 v94, v70, v40, -v115
	v_fmac_f32_e32 v116, v71, v40
	s_waitcnt vmcnt(0)
	v_mul_f32_e32 v58, v54, v33
	v_mul_f32_e32 v70, v49, v35
	v_add_f32_e32 v71, v62, v68
	v_fma_f32 v62, -0.5, v93, v62
	v_add_f32_e32 v64, v64, v59
	v_add_f32_e32 v65, v97, v98
	v_fma_f32 v50, v50, v42, -v117
	v_fmac_f32_e32 v118, v51, v42
	v_mul_f32_e32 v51, v55, v33
	v_mul_f32_e32 v59, v48, v35
	v_sub_f32_e32 v97, v112, v114
	v_fmac_f32_e32 v58, v55, v32
	v_fma_f32 v55, v48, v34, -v70
	v_mov_b32_e32 v70, v62
	v_add_f32_e32 v48, v56, v94
	v_mov_b32_e32 v67, v61
	v_fmac_f32_e32 v62, 0xbf5db3d7, v97
	v_fmac_f32_e32 v70, 0x3f5db3d7, v97
	v_add_f32_e32 v97, v48, v50
	v_add_f32_e32 v48, v94, v50
	v_fmac_f32_e32 v61, 0x3f5db3d7, v111
	v_fmac_f32_e32 v67, 0xbf5db3d7, v111
	v_add_f32_e32 v111, v112, v114
	v_fma_f32 v56, -0.5, v48, v56
	v_add_f32_e32 v98, v63, v112
	v_fmac_f32_e32 v63, -0.5, v111
	v_sub_f32_e32 v48, v116, v118
	v_mov_b32_e32 v111, v56
	v_fmac_f32_e32 v111, 0x3f5db3d7, v48
	v_fmac_f32_e32 v56, 0xbf5db3d7, v48
	v_add_f32_e32 v48, v57, v116
	v_sub_f32_e32 v112, v68, v69
	v_add_f32_e32 v68, v71, v69
	v_add_f32_e32 v69, v98, v114
	;; [unrolled: 1-line block ×4, first 2 shown]
	v_mov_b32_e32 v71, v63
	v_fmac_f32_e32 v57, -0.5, v48
	v_fma_f32 v54, v54, v32, -v51
	v_fmac_f32_e32 v71, 0xbf5db3d7, v112
	v_fmac_f32_e32 v63, 0x3f5db3d7, v112
	v_sub_f32_e32 v48, v94, v50
	v_mov_b32_e32 v112, v57
	v_fmac_f32_e32 v112, 0xbf5db3d7, v48
	v_fmac_f32_e32 v57, 0x3f5db3d7, v48
	v_add_f32_e32 v48, v54, v55
	v_fmac_f32_e32 v59, v49, v34
	v_fma_f32 v50, -0.5, v48, v52
	v_sub_f32_e32 v49, v58, v59
	v_mov_b32_e32 v48, v50
	v_fmac_f32_e32 v48, 0x3f5db3d7, v49
	v_fmac_f32_e32 v50, 0xbf5db3d7, v49
	v_add_f32_e32 v49, v58, v59
	v_fma_f32 v51, -0.5, v49, v53
	v_sub_f32_e32 v93, v54, v55
	v_mov_b32_e32 v49, v51
	v_fmac_f32_e32 v49, 0xbf5db3d7, v93
	v_fmac_f32_e32 v51, 0x3f5db3d7, v93
	v_lshl_add_u32 v93, v99, 3, v101
	ds_write_b64 v93, v[66:67] offset:720
	ds_write_b64 v93, v[60:61] offset:1440
	ds_write2_b64 v100, v[64:65], v[68:69] offset1:27
	ds_write_b64 v93, v[70:71] offset:936
	ds_write_b64 v93, v[62:63] offset:1656
	;; [unrolled: 1-line block ×3, first 2 shown]
	ds_write2_b64 v100, v[111:112], v[56:57] offset0:144 offset1:234
	s_and_saveexec_b64 s[4:5], s[0:1]
	s_cbranch_execz .LBB0_13
; %bb.12:
	v_add_f32_e32 v53, v53, v58
	v_add_f32_e32 v52, v52, v54
	;; [unrolled: 1-line block ×4, first 2 shown]
	ds_write_b64 v100, v[52:53] offset:648
	v_add_u32_e32 v52, 0x400, v93
	ds_write2_b64 v52, v[48:49], v[50:51] offset0:43 offset1:133
.LBB0_13:
	s_or_b64 exec, exec, s[4:5]
	s_waitcnt lgkmcnt(0)
	s_barrier
	global_load_dwordx2 v[56:57], v[95:96], off offset:2160
	ds_read2_b64 v[52:55], v100 offset1:27
	s_add_u32 s4, s12, 0x870
	s_addc_u32 s5, s13, 0
	s_waitcnt vmcnt(0) lgkmcnt(0)
	v_mul_f32_e32 v58, v53, v57
	v_mul_f32_e32 v59, v52, v57
	v_fma_f32 v58, v52, v56, -v58
	v_fmac_f32_e32 v59, v53, v56
	global_load_dwordx2 v[52:53], v102, s[4:5] offset:216
	s_waitcnt vmcnt(0)
	v_mul_f32_e32 v56, v55, v53
	v_mul_f32_e32 v57, v54, v53
	v_fma_f32 v56, v54, v52, -v56
	v_fmac_f32_e32 v57, v55, v52
	ds_write2_b64 v100, v[58:59], v[56:57] offset1:27
	global_load_dwordx2 v[56:57], v102, s[4:5] offset:432
	ds_read2_b64 v[52:55], v100 offset0:54 offset1:108
	s_waitcnt vmcnt(0) lgkmcnt(0)
	v_mul_f32_e32 v58, v53, v57
	v_mul_f32_e32 v59, v52, v57
	v_fma_f32 v58, v52, v56, -v58
	v_fmac_f32_e32 v59, v53, v56
	global_load_dwordx2 v[56:57], v102, s[4:5] offset:648
	ds_read_b64 v[52:53], v93 offset:648
	s_waitcnt vmcnt(0) lgkmcnt(0)
	v_mul_f32_e32 v60, v53, v57
	v_mul_f32_e32 v61, v52, v57
	v_fma_f32 v60, v52, v56, -v60
	v_fmac_f32_e32 v61, v53, v56
	global_load_dwordx2 v[52:53], v102, s[4:5] offset:864
	ds_write_b64 v93, v[60:61] offset:648
	s_waitcnt vmcnt(0)
	v_mul_f32_e32 v56, v55, v53
	v_mul_f32_e32 v57, v54, v53
	v_fma_f32 v56, v54, v52, -v56
	v_fmac_f32_e32 v57, v55, v52
	ds_write2_b64 v100, v[58:59], v[56:57] offset0:54 offset1:108
	global_load_dwordx2 v[56:57], v102, s[4:5] offset:1080
	ds_read2_b64 v[52:55], v100 offset0:135 offset1:162
	s_waitcnt vmcnt(0) lgkmcnt(0)
	v_mul_f32_e32 v58, v53, v57
	v_mul_f32_e32 v59, v52, v57
	v_fma_f32 v58, v52, v56, -v58
	v_fmac_f32_e32 v59, v53, v56
	global_load_dwordx2 v[52:53], v102, s[4:5] offset:1296
	s_waitcnt vmcnt(0)
	v_mul_f32_e32 v56, v55, v53
	v_mul_f32_e32 v57, v54, v53
	v_fma_f32 v56, v54, v52, -v56
	v_fmac_f32_e32 v57, v55, v52
	ds_write2_b64 v100, v[58:59], v[56:57] offset0:135 offset1:162
	global_load_dwordx2 v[56:57], v102, s[4:5] offset:1512
	ds_read2_b64 v[52:55], v100 offset0:189 offset1:216
	s_waitcnt vmcnt(0) lgkmcnt(0)
	v_mul_f32_e32 v58, v53, v57
	v_mul_f32_e32 v59, v52, v57
	v_fma_f32 v58, v52, v56, -v58
	v_fmac_f32_e32 v59, v53, v56
	global_load_dwordx2 v[52:53], v102, s[4:5] offset:1728
	s_waitcnt vmcnt(0)
	v_mul_f32_e32 v56, v55, v53
	v_mul_f32_e32 v57, v54, v53
	v_fma_f32 v56, v54, v52, -v56
	v_fmac_f32_e32 v57, v55, v52
	global_load_dwordx2 v[54:55], v102, s[4:5] offset:1944
	ds_read_b64 v[52:53], v100 offset:1944
	ds_write2_b64 v100, v[58:59], v[56:57] offset0:189 offset1:216
	s_waitcnt vmcnt(0) lgkmcnt(1)
	v_mul_f32_e32 v56, v53, v55
	v_mul_f32_e32 v57, v52, v55
	v_fma_f32 v56, v52, v54, -v56
	v_fmac_f32_e32 v57, v53, v54
	ds_write_b64 v100, v[56:57] offset:1944
	s_waitcnt lgkmcnt(0)
	s_barrier
	ds_read2_b64 v[52:55], v100 offset1:27
	ds_read2_b64 v[56:59], v100 offset0:54 offset1:108
	ds_read_b64 v[68:69], v93 offset:648
	ds_read2_b64 v[60:63], v100 offset0:135 offset1:162
	ds_read2_b64 v[64:67], v100 offset0:189 offset1:216
	ds_read_b64 v[70:71], v100 offset:1944
	s_waitcnt lgkmcnt(4)
	v_sub_f32_e32 v102, v56, v58
	v_add_f32_e32 v94, v52, v56
	s_waitcnt lgkmcnt(2)
	v_add_f32_e32 v95, v58, v62
	v_fma_f32 v95, -0.5, v95, v52
	s_waitcnt lgkmcnt(1)
	v_sub_f32_e32 v96, v57, v67
	v_mov_b32_e32 v97, v95
	v_fmac_f32_e32 v97, 0xbf737871, v96
	v_sub_f32_e32 v98, v59, v63
	v_sub_f32_e32 v111, v66, v62
	v_fmac_f32_e32 v95, 0x3f737871, v96
	v_fmac_f32_e32 v97, 0xbf167918, v98
	v_add_f32_e32 v102, v102, v111
	v_fmac_f32_e32 v95, 0x3f167918, v98
	v_fmac_f32_e32 v97, 0x3e9e377a, v102
	;; [unrolled: 1-line block ×3, first 2 shown]
	v_add_f32_e32 v102, v56, v66
	v_fma_f32 v52, -0.5, v102, v52
	v_mov_b32_e32 v102, v52
	v_fmac_f32_e32 v102, 0x3f737871, v98
	v_sub_f32_e32 v111, v58, v56
	v_sub_f32_e32 v112, v62, v66
	v_fmac_f32_e32 v52, 0xbf737871, v98
	v_add_f32_e32 v98, v59, v63
	v_add_f32_e32 v94, v94, v58
	v_fmac_f32_e32 v102, 0xbf167918, v96
	v_add_f32_e32 v111, v111, v112
	v_fmac_f32_e32 v52, 0x3f167918, v96
	v_fma_f32 v98, -0.5, v98, v53
	v_add_f32_e32 v94, v94, v62
	v_fmac_f32_e32 v102, 0x3e9e377a, v111
	v_fmac_f32_e32 v52, 0x3e9e377a, v111
	v_sub_f32_e32 v56, v56, v66
	v_mov_b32_e32 v111, v98
	v_add_f32_e32 v94, v94, v66
	v_fmac_f32_e32 v111, 0x3f737871, v56
	v_sub_f32_e32 v58, v58, v62
	v_sub_f32_e32 v62, v57, v59
	;; [unrolled: 1-line block ×3, first 2 shown]
	v_fmac_f32_e32 v98, 0xbf737871, v56
	v_fmac_f32_e32 v111, 0x3f167918, v58
	v_add_f32_e32 v62, v62, v66
	v_fmac_f32_e32 v98, 0xbf167918, v58
	v_fmac_f32_e32 v111, 0x3e9e377a, v62
	;; [unrolled: 1-line block ×3, first 2 shown]
	v_add_f32_e32 v62, v57, v67
	v_add_f32_e32 v96, v53, v57
	v_fma_f32 v53, -0.5, v62, v53
	v_mov_b32_e32 v112, v53
	v_fmac_f32_e32 v112, 0xbf737871, v58
	v_fmac_f32_e32 v53, 0x3f737871, v58
	;; [unrolled: 1-line block ×4, first 2 shown]
	v_add_f32_e32 v56, v54, v68
	v_add_f32_e32 v56, v56, v60
	;; [unrolled: 1-line block ×5, first 2 shown]
	s_waitcnt lgkmcnt(0)
	v_add_f32_e32 v66, v56, v70
	v_add_f32_e32 v56, v60, v64
	;; [unrolled: 1-line block ×3, first 2 shown]
	v_sub_f32_e32 v57, v59, v57
	v_sub_f32_e32 v59, v63, v67
	v_fma_f32 v67, -0.5, v56, v54
	v_add_f32_e32 v57, v57, v59
	v_sub_f32_e32 v56, v69, v71
	v_mov_b32_e32 v59, v67
	v_fmac_f32_e32 v112, 0x3e9e377a, v57
	v_fmac_f32_e32 v53, 0x3e9e377a, v57
	;; [unrolled: 1-line block ×3, first 2 shown]
	v_sub_f32_e32 v57, v61, v65
	v_sub_f32_e32 v58, v68, v60
	;; [unrolled: 1-line block ×3, first 2 shown]
	v_fmac_f32_e32 v67, 0x3f737871, v56
	v_fmac_f32_e32 v59, 0xbf167918, v57
	v_add_f32_e32 v58, v58, v62
	v_fmac_f32_e32 v67, 0x3f167918, v57
	v_fmac_f32_e32 v59, 0x3e9e377a, v58
	;; [unrolled: 1-line block ×3, first 2 shown]
	v_add_f32_e32 v58, v68, v70
	v_fma_f32 v54, -0.5, v58, v54
	v_mov_b32_e32 v63, v54
	v_fmac_f32_e32 v63, 0x3f737871, v57
	v_fmac_f32_e32 v54, 0xbf737871, v57
	;; [unrolled: 1-line block ×4, first 2 shown]
	v_add_f32_e32 v56, v55, v69
	v_add_f32_e32 v56, v56, v61
	;; [unrolled: 1-line block ×5, first 2 shown]
	v_sub_f32_e32 v58, v60, v68
	v_sub_f32_e32 v62, v64, v70
	v_fma_f32 v114, -0.5, v56, v55
	v_add_f32_e32 v58, v58, v62
	v_sub_f32_e32 v56, v68, v70
	v_mov_b32_e32 v68, v114
	v_fmac_f32_e32 v63, 0x3e9e377a, v58
	v_fmac_f32_e32 v54, 0x3e9e377a, v58
	;; [unrolled: 1-line block ×3, first 2 shown]
	v_sub_f32_e32 v57, v60, v64
	v_sub_f32_e32 v58, v69, v61
	;; [unrolled: 1-line block ×3, first 2 shown]
	v_fmac_f32_e32 v114, 0xbf737871, v56
	v_fmac_f32_e32 v68, 0x3f167918, v57
	v_add_f32_e32 v58, v58, v60
	v_fmac_f32_e32 v114, 0xbf167918, v57
	v_fmac_f32_e32 v68, 0x3e9e377a, v58
	;; [unrolled: 1-line block ×3, first 2 shown]
	v_add_f32_e32 v58, v69, v71
	v_fmac_f32_e32 v55, -0.5, v58
	v_mov_b32_e32 v70, v55
	v_fmac_f32_e32 v70, 0xbf737871, v57
	v_sub_f32_e32 v58, v61, v69
	v_sub_f32_e32 v60, v65, v71
	v_fmac_f32_e32 v55, 0x3f737871, v57
	v_fmac_f32_e32 v70, 0x3f167918, v56
	v_add_f32_e32 v58, v58, v60
	v_fmac_f32_e32 v55, 0xbf167918, v56
	v_fmac_f32_e32 v70, 0x3e9e377a, v58
	;; [unrolled: 1-line block ×3, first 2 shown]
	v_mul_f32_e32 v69, 0xbf167918, v68
	v_mul_f32_e32 v71, 0xbf737871, v70
	;; [unrolled: 1-line block ×8, first 2 shown]
	v_fmac_f32_e32 v69, 0x3f4f1bbd, v59
	v_fmac_f32_e32 v71, 0x3e9e377a, v63
	;; [unrolled: 1-line block ×8, first 2 shown]
	v_add_f32_e32 v56, v94, v66
	v_add_f32_e32 v58, v97, v69
	;; [unrolled: 1-line block ×10, first 2 shown]
	v_sub_f32_e32 v66, v94, v66
	v_sub_f32_e32 v68, v97, v69
	;; [unrolled: 1-line block ×10, first 2 shown]
	s_barrier
	ds_write_b128 v104, v[56:59]
	ds_write_b128 v104, v[60:63] offset:16
	ds_write_b128 v104, v[64:67] offset:32
	;; [unrolled: 1-line block ×4, first 2 shown]
	s_waitcnt lgkmcnt(0)
	s_barrier
	ds_read2_b64 v[60:63], v100 offset1:27
	ds_read2_b64 v[56:59], v100 offset0:54 offset1:90
	ds_read2_b64 v[68:71], v100 offset0:180 offset1:207
	;; [unrolled: 1-line block ×3, first 2 shown]
	ds_read_b64 v[52:53], v100 offset:1872
	s_and_saveexec_b64 s[4:5], s[0:1]
	s_cbranch_execz .LBB0_15
; %bb.14:
	v_add_u32_e32 v48, 0x400, v100
	ds_read_b64 v[54:55], v93 offset:648
	ds_read2_b64 v[48:51], v48 offset0:43 offset1:133
.LBB0_15:
	s_or_b64 exec, exec, s[4:5]
	s_waitcnt lgkmcnt(3)
	v_mul_f32_e32 v94, v13, v59
	v_mul_f32_e32 v13, v13, v58
	v_fmac_f32_e32 v94, v12, v58
	v_fma_f32 v12, v12, v59, -v13
	s_waitcnt lgkmcnt(2)
	v_mul_f32_e32 v13, v15, v69
	v_mul_f32_e32 v15, v15, v68
	v_fmac_f32_e32 v13, v14, v68
	v_fma_f32 v14, v14, v69, -v15
	s_waitcnt lgkmcnt(1)
	v_mul_f32_e32 v15, v5, v65
	v_mul_f32_e32 v5, v5, v64
	v_fma_f32 v58, v4, v65, -v5
	v_mul_f32_e32 v65, v1, v67
	v_mul_f32_e32 v1, v1, v66
	v_fmac_f32_e32 v65, v0, v66
	v_fma_f32 v66, v0, v67, -v1
	s_waitcnt lgkmcnt(0)
	v_mul_f32_e32 v67, v3, v53
	v_mul_f32_e32 v0, v3, v52
	v_add_f32_e32 v3, v12, v14
	v_fma_f32 v5, -0.5, v3, v61
	v_fmac_f32_e32 v15, v4, v64
	v_mul_f32_e32 v59, v7, v71
	v_mul_f32_e32 v4, v7, v70
	v_sub_f32_e32 v3, v94, v13
	v_mov_b32_e32 v7, v5
	v_fmac_f32_e32 v59, v6, v70
	v_fmac_f32_e32 v67, v2, v52
	v_fma_f32 v2, v2, v53, -v0
	v_mul_f32_e32 v53, v9, v49
	v_mul_f32_e32 v0, v9, v48
	v_fmac_f32_e32 v7, 0x3f5db3d7, v3
	v_fmac_f32_e32 v5, 0xbf5db3d7, v3
	v_add_f32_e32 v3, v62, v15
	v_fmac_f32_e32 v53, v8, v48
	v_fma_f32 v48, v8, v49, -v0
	v_add_f32_e32 v8, v3, v59
	v_add_f32_e32 v3, v15, v59
	v_fma_f32 v64, v6, v71, -v4
	v_mul_f32_e32 v49, v11, v51
	v_mul_f32_e32 v0, v11, v50
	v_fma_f32 v62, -0.5, v3, v62
	v_fmac_f32_e32 v49, v10, v50
	v_fma_f32 v50, v10, v51, -v0
	v_sub_f32_e32 v3, v58, v64
	v_mov_b32_e32 v10, v62
	v_fmac_f32_e32 v10, 0xbf5db3d7, v3
	v_fmac_f32_e32 v62, 0x3f5db3d7, v3
	v_add_f32_e32 v3, v63, v58
	v_add_f32_e32 v9, v3, v64
	;; [unrolled: 1-line block ×4, first 2 shown]
	v_fmac_f32_e32 v63, -0.5, v3
	v_fma_f32 v4, -0.5, v1, v60
	v_sub_f32_e32 v3, v15, v59
	v_mov_b32_e32 v11, v63
	v_sub_f32_e32 v1, v12, v14
	v_mov_b32_e32 v6, v4
	v_fmac_f32_e32 v11, 0x3f5db3d7, v3
	v_fmac_f32_e32 v63, 0xbf5db3d7, v3
	v_add_f32_e32 v3, v56, v65
	v_fmac_f32_e32 v6, 0xbf5db3d7, v1
	v_fmac_f32_e32 v4, 0x3f5db3d7, v1
	v_add_f32_e32 v1, v61, v12
	v_add_f32_e32 v12, v3, v67
	;; [unrolled: 1-line block ×3, first 2 shown]
	v_fma_f32 v56, -0.5, v3, v56
	v_add_f32_e32 v1, v1, v14
	v_sub_f32_e32 v3, v66, v2
	v_mov_b32_e32 v14, v56
	v_add_f32_e32 v0, v60, v94
	v_fmac_f32_e32 v14, 0xbf5db3d7, v3
	v_fmac_f32_e32 v56, 0x3f5db3d7, v3
	v_add_f32_e32 v3, v57, v66
	v_add_f32_e32 v0, v0, v13
	v_add_f32_e32 v13, v3, v2
	v_add_f32_e32 v2, v66, v2
	v_fmac_f32_e32 v57, -0.5, v2
	v_sub_f32_e32 v2, v65, v67
	v_mov_b32_e32 v15, v57
	v_add_f32_e32 v3, v53, v49
	v_fmac_f32_e32 v15, 0x3f5db3d7, v2
	v_fmac_f32_e32 v57, 0xbf5db3d7, v2
	v_add_f32_e32 v2, v54, v53
	v_fmac_f32_e32 v54, -0.5, v3
	v_sub_f32_e32 v3, v48, v50
	v_mov_b32_e32 v52, v54
	v_fmac_f32_e32 v52, 0xbf5db3d7, v3
	v_fmac_f32_e32 v54, 0x3f5db3d7, v3
	v_add_f32_e32 v3, v55, v48
	v_add_f32_e32 v48, v48, v50
	v_fmac_f32_e32 v55, -0.5, v48
	v_sub_f32_e32 v48, v53, v49
	v_mov_b32_e32 v53, v55
	v_add_f32_e32 v2, v2, v49
	v_add_f32_e32 v3, v3, v50
	v_fmac_f32_e32 v53, 0x3f5db3d7, v48
	v_fmac_f32_e32 v55, 0xbf5db3d7, v48
	s_barrier
	ds_write2_b64 v106, v[0:1], v[6:7] offset1:10
	ds_write_b64 v106, v[4:5] offset:160
	ds_write2_b64 v107, v[8:9], v[10:11] offset1:10
	ds_write_b64 v107, v[62:63] offset:160
	;; [unrolled: 2-line block ×3, first 2 shown]
	s_and_saveexec_b64 s[4:5], s[0:1]
	s_cbranch_execz .LBB0_17
; %bb.16:
	v_and_b32_e32 v0, 0xff, v103
	v_lshl_add_u32 v0, v0, 3, v101
	ds_write2_b64 v0, v[2:3], v[52:53] offset0:240 offset1:250
	ds_write_b64 v0, v[54:55] offset:2080
.LBB0_17:
	s_or_b64 exec, exec, s[4:5]
	s_waitcnt lgkmcnt(0)
	s_barrier
	ds_read2_b64 v[8:11], v100 offset1:27
	ds_read2_b64 v[4:7], v100 offset0:54 offset1:90
	ds_read2_b64 v[48:51], v100 offset0:180 offset1:207
	ds_read2_b64 v[12:15], v100 offset0:117 offset1:144
	ds_read_b64 v[0:1], v100 offset:1872
	s_and_saveexec_b64 s[4:5], s[0:1]
	s_cbranch_execz .LBB0_19
; %bb.18:
	v_add_u32_e32 v52, 0x400, v100
	ds_read_b64 v[2:3], v93 offset:648
	ds_read2_b64 v[52:55], v52 offset0:43 offset1:133
.LBB0_19:
	s_or_b64 exec, exec, s[4:5]
	s_waitcnt lgkmcnt(3)
	v_mul_f32_e32 v56, v17, v7
	v_fmac_f32_e32 v56, v16, v6
	v_mul_f32_e32 v6, v17, v6
	v_fma_f32 v16, v16, v7, -v6
	s_waitcnt lgkmcnt(2)
	v_mul_f32_e32 v17, v19, v49
	v_mul_f32_e32 v6, v19, v48
	v_fmac_f32_e32 v17, v18, v48
	v_fma_f32 v18, v18, v49, -v6
	s_waitcnt lgkmcnt(1)
	v_mul_f32_e32 v19, v25, v13
	v_mul_f32_e32 v6, v25, v12
	v_fmac_f32_e32 v19, v24, v12
	v_fma_f32 v24, v24, v13, -v6
	v_mul_f32_e32 v25, v27, v51
	v_mul_f32_e32 v6, v27, v50
	v_fmac_f32_e32 v25, v26, v50
	v_fma_f32 v26, v26, v51, -v6
	v_mul_f32_e32 v27, v21, v15
	v_mul_f32_e32 v6, v21, v14
	s_waitcnt lgkmcnt(0)
	v_mul_f32_e32 v21, v23, v1
	v_fmac_f32_e32 v21, v22, v0
	v_mul_f32_e32 v0, v23, v0
	v_fmac_f32_e32 v27, v20, v14
	v_fma_f32 v20, v20, v15, -v6
	v_fma_f32 v0, v22, v1, -v0
	v_mul_f32_e32 v1, v29, v53
	v_mul_f32_e32 v6, v29, v52
	v_fmac_f32_e32 v1, v28, v52
	v_fma_f32 v28, v28, v53, -v6
	v_mul_f32_e32 v29, v31, v55
	v_mul_f32_e32 v6, v31, v54
	v_add_f32_e32 v7, v56, v17
	v_fmac_f32_e32 v29, v30, v54
	v_fma_f32 v30, v30, v55, -v6
	v_add_f32_e32 v6, v8, v56
	v_fma_f32 v8, -0.5, v7, v8
	v_sub_f32_e32 v7, v16, v18
	v_mov_b32_e32 v12, v8
	v_add_f32_e32 v13, v16, v18
	v_fmac_f32_e32 v12, 0xbf5db3d7, v7
	v_fmac_f32_e32 v8, 0x3f5db3d7, v7
	v_add_f32_e32 v7, v9, v16
	v_fma_f32 v9, -0.5, v13, v9
	v_sub_f32_e32 v14, v56, v17
	v_mov_b32_e32 v13, v9
	v_add_f32_e32 v15, v19, v25
	v_fmac_f32_e32 v13, 0x3f5db3d7, v14
	v_fmac_f32_e32 v9, 0xbf5db3d7, v14
	v_add_f32_e32 v14, v10, v19
	v_fma_f32 v10, -0.5, v15, v10
	v_add_f32_e32 v6, v6, v17
	v_sub_f32_e32 v15, v24, v26
	v_mov_b32_e32 v16, v10
	v_add_f32_e32 v17, v24, v26
	v_fmac_f32_e32 v16, 0xbf5db3d7, v15
	v_fmac_f32_e32 v10, 0x3f5db3d7, v15
	v_add_f32_e32 v15, v11, v24
	v_fmac_f32_e32 v11, -0.5, v17
	v_add_f32_e32 v7, v7, v18
	v_sub_f32_e32 v18, v19, v25
	v_mov_b32_e32 v17, v11
	v_add_f32_e32 v19, v27, v21
	v_fmac_f32_e32 v17, 0x3f5db3d7, v18
	v_fmac_f32_e32 v11, 0xbf5db3d7, v18
	v_add_f32_e32 v18, v4, v27
	v_fma_f32 v4, -0.5, v19, v4
	v_sub_f32_e32 v19, v20, v0
	v_mov_b32_e32 v22, v4
	v_fmac_f32_e32 v22, 0xbf5db3d7, v19
	v_fmac_f32_e32 v4, 0x3f5db3d7, v19
	v_add_f32_e32 v19, v5, v20
	v_add_f32_e32 v19, v19, v0
	;; [unrolled: 1-line block ×3, first 2 shown]
	v_fmac_f32_e32 v5, -0.5, v0
	v_sub_f32_e32 v0, v27, v21
	v_mov_b32_e32 v23, v5
	v_fmac_f32_e32 v23, 0x3f5db3d7, v0
	v_fmac_f32_e32 v5, 0xbf5db3d7, v0
	v_add_f32_e32 v0, v2, v1
	v_add_f32_e32 v20, v0, v29
	;; [unrolled: 1-line block ×3, first 2 shown]
	v_fmac_f32_e32 v2, -0.5, v0
	v_add_f32_e32 v18, v18, v21
	v_sub_f32_e32 v21, v28, v30
	v_mov_b32_e32 v0, v2
	v_add_f32_e32 v24, v28, v30
	v_fmac_f32_e32 v0, 0xbf5db3d7, v21
	v_fmac_f32_e32 v2, 0x3f5db3d7, v21
	v_add_f32_e32 v21, v3, v28
	v_fmac_f32_e32 v3, -0.5, v24
	v_sub_f32_e32 v24, v1, v29
	v_mov_b32_e32 v1, v3
	v_add_f32_e32 v21, v21, v30
	v_fmac_f32_e32 v1, 0x3f5db3d7, v24
	v_fmac_f32_e32 v3, 0xbf5db3d7, v24
	v_add_f32_e32 v14, v14, v25
	v_add_f32_e32 v15, v15, v26
	s_barrier
	ds_write2_b64 v100, v[6:7], v[12:13] offset1:30
	ds_write_b64 v100, v[8:9] offset:480
	ds_write2_b64 v109, v[14:15], v[16:17] offset1:30
	ds_write_b64 v109, v[10:11] offset:480
	;; [unrolled: 2-line block ×3, first 2 shown]
	s_and_saveexec_b64 s[4:5], s[0:1]
	s_cbranch_execz .LBB0_21
; %bb.20:
	v_and_b32_e32 v4, 0xff, v105
	v_lshl_add_u32 v4, v4, 3, v101
	ds_write2_b64 v4, v[20:21], v[0:1] offset0:180 offset1:210
	ds_write_b64 v4, v[2:3] offset:1920
.LBB0_21:
	s_or_b64 exec, exec, s[4:5]
	s_waitcnt lgkmcnt(0)
	s_barrier
	ds_read2_b64 v[8:11], v100 offset1:27
	ds_read2_b64 v[4:7], v100 offset0:54 offset1:90
	ds_read2_b64 v[16:19], v100 offset0:180 offset1:207
	;; [unrolled: 1-line block ×3, first 2 shown]
	ds_read_b64 v[22:23], v100 offset:1872
	v_add_u32_e32 v24, 0x1b0, v100
	s_and_saveexec_b64 s[4:5], s[0:1]
	s_cbranch_execz .LBB0_23
; %bb.22:
	v_add_u32_e32 v0, 0x400, v100
	ds_read_b64 v[20:21], v93 offset:648
	ds_read2_b64 v[0:3], v0 offset0:43 offset1:133
.LBB0_23:
	s_or_b64 exec, exec, s[4:5]
	s_waitcnt lgkmcnt(3)
	v_mul_f32_e32 v25, v37, v7
	v_fmac_f32_e32 v25, v36, v6
	v_mul_f32_e32 v6, v37, v6
	v_fma_f32 v26, v36, v7, -v6
	s_waitcnt lgkmcnt(2)
	v_mul_f32_e32 v27, v39, v17
	v_mul_f32_e32 v6, v39, v16
	v_fmac_f32_e32 v27, v38, v16
	v_fma_f32 v16, v38, v17, -v6
	s_waitcnt lgkmcnt(1)
	v_mul_f32_e32 v6, v45, v12
	v_fma_f32 v28, v44, v13, -v6
	v_mul_f32_e32 v29, v47, v19
	v_mul_f32_e32 v6, v47, v18
	v_fmac_f32_e32 v29, v46, v18
	v_fma_f32 v18, v46, v19, -v6
	v_mul_f32_e32 v6, v41, v14
	v_fma_f32 v31, v40, v15, -v6
	s_waitcnt lgkmcnt(0)
	v_mul_f32_e32 v6, v43, v22
	v_add_f32_e32 v7, v25, v27
	v_mul_f32_e32 v17, v45, v13
	v_mul_f32_e32 v36, v43, v23
	v_fma_f32 v23, v42, v23, -v6
	v_add_f32_e32 v6, v8, v25
	v_fma_f32 v8, -0.5, v7, v8
	v_fmac_f32_e32 v17, v44, v12
	v_sub_f32_e32 v7, v26, v16
	v_mov_b32_e32 v12, v8
	v_add_f32_e32 v13, v26, v16
	v_mul_f32_e32 v30, v41, v15
	v_fmac_f32_e32 v12, 0xbf5db3d7, v7
	v_fmac_f32_e32 v8, 0x3f5db3d7, v7
	v_add_f32_e32 v7, v9, v26
	v_fma_f32 v9, -0.5, v13, v9
	v_fmac_f32_e32 v30, v40, v14
	v_sub_f32_e32 v14, v25, v27
	v_mov_b32_e32 v13, v9
	v_add_f32_e32 v15, v17, v29
	v_fmac_f32_e32 v13, 0x3f5db3d7, v14
	v_fmac_f32_e32 v9, 0xbf5db3d7, v14
	v_add_f32_e32 v14, v10, v17
	v_fma_f32 v10, -0.5, v15, v10
	v_add_f32_e32 v7, v7, v16
	v_sub_f32_e32 v15, v28, v18
	v_mov_b32_e32 v16, v10
	v_fmac_f32_e32 v16, 0xbf5db3d7, v15
	v_fmac_f32_e32 v10, 0x3f5db3d7, v15
	v_add_f32_e32 v15, v11, v28
	v_add_f32_e32 v15, v15, v18
	v_add_f32_e32 v18, v28, v18
	v_fmac_f32_e32 v36, v42, v22
	v_fmac_f32_e32 v11, -0.5, v18
	v_sub_f32_e32 v18, v17, v29
	v_mov_b32_e32 v17, v11
	v_add_f32_e32 v19, v30, v36
	v_fmac_f32_e32 v17, 0x3f5db3d7, v18
	v_fmac_f32_e32 v11, 0xbf5db3d7, v18
	v_add_f32_e32 v18, v4, v30
	v_fma_f32 v4, -0.5, v19, v4
	v_sub_f32_e32 v19, v31, v23
	v_mov_b32_e32 v22, v4
	v_fmac_f32_e32 v22, 0xbf5db3d7, v19
	v_fmac_f32_e32 v4, 0x3f5db3d7, v19
	v_add_f32_e32 v19, v5, v31
	v_add_f32_e32 v19, v19, v23
	;; [unrolled: 1-line block ×3, first 2 shown]
	v_fmac_f32_e32 v5, -0.5, v23
	v_add_f32_e32 v6, v6, v27
	v_sub_f32_e32 v25, v30, v36
	v_mov_b32_e32 v23, v5
	v_add_f32_e32 v14, v14, v29
	v_add_f32_e32 v18, v18, v36
	v_fmac_f32_e32 v23, 0x3f5db3d7, v25
	v_fmac_f32_e32 v5, 0xbf5db3d7, v25
	ds_write_b64 v100, v[6:7]
	ds_write_b64 v93, v[12:13] offset:720
	ds_write_b64 v93, v[8:9] offset:1440
	;; [unrolled: 1-line block ×6, first 2 shown]
	ds_write2_b64 v24, v[22:23], v[4:5] offset0:90 offset1:180
	s_and_saveexec_b64 s[4:5], s[0:1]
	s_cbranch_execz .LBB0_25
; %bb.24:
	v_mul_f32_e32 v4, v33, v0
	v_fma_f32 v5, v32, v1, -v4
	v_mul_f32_e32 v4, v35, v2
	v_fma_f32 v7, v34, v3, -v4
	v_add_f32_e32 v4, v5, v7
	v_mul_f32_e32 v8, v33, v1
	v_mul_f32_e32 v9, v35, v3
	v_fma_f32 v4, -0.5, v4, v21
	v_fmac_f32_e32 v8, v32, v0
	v_fmac_f32_e32 v9, v34, v2
	v_sub_f32_e32 v0, v8, v9
	v_mov_b32_e32 v1, v4
	v_fmac_f32_e32 v1, 0xbf5db3d7, v0
	v_fmac_f32_e32 v4, 0x3f5db3d7, v0
	v_add_f32_e32 v0, v21, v5
	v_add_f32_e32 v6, v0, v7
	v_add_f32_e32 v0, v8, v9
	v_fma_f32 v3, -0.5, v0, v20
	v_sub_f32_e32 v2, v5, v7
	v_mov_b32_e32 v0, v3
	v_fmac_f32_e32 v0, 0x3f5db3d7, v2
	v_fmac_f32_e32 v3, 0xbf5db3d7, v2
	v_add_f32_e32 v2, v20, v8
	v_add_f32_e32 v5, v2, v9
	v_add_u32_e32 v2, 0x400, v93
	ds_write_b64 v93, v[5:6] offset:648
	ds_write2_b64 v2, v[3:4], v[0:1] offset0:43 offset1:133
.LBB0_25:
	s_or_b64 exec, exec, s[4:5]
	s_waitcnt lgkmcnt(0)
	s_barrier
	ds_read2_b64 v[0:3], v100 offset1:27
	v_mad_u64_u32 v[4:5], s[0:1], s10, v78, 0
	s_mov_b32 s0, 0xc901e574
	s_mov_b32 s1, 0x3f6e573a
	s_waitcnt lgkmcnt(0)
	v_mul_f32_e32 v6, v92, v1
	v_fmac_f32_e32 v6, v91, v0
	v_cvt_f64_f32_e32 v[6:7], v6
	v_mul_f32_e32 v0, v92, v0
	v_fma_f32 v0, v91, v1, -v0
	v_cvt_f64_f32_e32 v[0:1], v0
	v_mul_f64 v[6:7], v[6:7], s[0:1]
	v_mad_u64_u32 v[8:9], s[4:5], s8, v99, 0
	v_mul_f64 v[0:1], v[0:1], s[0:1]
	v_mad_u64_u32 v[10:11], s[4:5], s11, v78, v[5:6]
	v_mov_b32_e32 v5, v9
	v_mad_u64_u32 v[11:12], s[4:5], s9, v99, v[5:6]
	v_mov_b32_e32 v5, v10
	v_cvt_f32_f64_e32 v6, v[6:7]
	v_cvt_f32_f64_e32 v7, v[0:1]
	v_lshlrev_b64 v[0:1], 3, v[4:5]
	v_mul_f32_e32 v4, v90, v3
	v_fmac_f32_e32 v4, v89, v2
	v_mul_f32_e32 v2, v90, v2
	v_fma_f32 v2, v89, v3, -v2
	v_cvt_f64_f32_e32 v[4:5], v4
	v_cvt_f64_f32_e32 v[2:3], v2
	v_mov_b32_e32 v9, v11
	v_mov_b32_e32 v10, s3
	v_add_co_u32_e32 v11, vcc, s2, v0
	v_addc_co_u32_e32 v10, vcc, v10, v1, vcc
	v_mul_f64 v[0:1], v[4:5], s[0:1]
	v_mul_f64 v[2:3], v[2:3], s[0:1]
	v_lshlrev_b64 v[4:5], 3, v[8:9]
	s_mul_i32 s2, s9, 0xd8
	v_add_co_u32_e32 v4, vcc, v11, v4
	v_addc_co_u32_e32 v5, vcc, v10, v5, vcc
	global_store_dwordx2 v[4:5], v[6:7], off
	v_cvt_f32_f64_e32 v6, v[0:1]
	v_cvt_f32_f64_e32 v7, v[2:3]
	ds_read2_b64 v[0:3], v100 offset0:54 offset1:108
	s_mul_hi_u32 s3, s8, 0xd8
	s_add_i32 s2, s3, s2
	s_mul_i32 s3, s8, 0xd8
	v_mov_b32_e32 v8, s2
	v_add_co_u32_e32 v4, vcc, s3, v4
	v_addc_co_u32_e32 v5, vcc, v5, v8, vcc
	s_waitcnt lgkmcnt(0)
	v_mul_f32_e32 v8, v88, v1
	v_fmac_f32_e32 v8, v87, v0
	v_mul_f32_e32 v0, v88, v0
	v_fma_f32 v0, v87, v1, -v0
	v_cvt_f64_f32_e32 v[8:9], v8
	v_cvt_f64_f32_e32 v[0:1], v0
	ds_read_b64 v[10:11], v93 offset:648
	global_store_dwordx2 v[4:5], v[6:7], off
	v_mul_f64 v[6:7], v[8:9], s[0:1]
	ds_read_b64 v[8:9], v100 offset:1944
	v_mul_f64 v[0:1], v[0:1], s[0:1]
	s_waitcnt lgkmcnt(1)
	v_mul_f32_e32 v12, v73, v11
	v_fmac_f32_e32 v12, v72, v10
	v_cvt_f64_f32_e32 v[12:13], v12
	v_mul_f32_e32 v10, v73, v10
	v_fma_f32 v10, v72, v11, -v10
	v_cvt_f64_f32_e32 v[10:11], v10
	v_cvt_f32_f64_e32 v6, v[6:7]
	v_cvt_f32_f64_e32 v7, v[0:1]
	v_mul_f64 v[0:1], v[12:13], s[0:1]
	v_mul_f64 v[10:11], v[10:11], s[0:1]
	v_mov_b32_e32 v12, s2
	v_add_co_u32_e32 v4, vcc, s3, v4
	v_addc_co_u32_e32 v5, vcc, v5, v12, vcc
	global_store_dwordx2 v[4:5], v[6:7], off
	v_cvt_f32_f64_e32 v6, v[0:1]
	v_mul_f32_e32 v0, v77, v3
	v_fmac_f32_e32 v0, v76, v2
	v_cvt_f32_f64_e32 v7, v[10:11]
	v_cvt_f64_f32_e32 v[10:11], v0
	v_mul_f32_e32 v0, v77, v2
	v_fma_f32 v0, v76, v3, -v0
	v_cvt_f64_f32_e32 v[12:13], v0
	ds_read2_b64 v[0:3], v100 offset0:135 offset1:162
	v_mov_b32_e32 v14, s2
	v_add_co_u32_e32 v4, vcc, s3, v4
	v_addc_co_u32_e32 v5, vcc, v5, v14, vcc
	global_store_dwordx2 v[4:5], v[6:7], off
	v_mul_f64 v[6:7], v[10:11], s[0:1]
	v_mul_f64 v[10:11], v[12:13], s[0:1]
	s_waitcnt lgkmcnt(0)
	v_mul_f32_e32 v12, v75, v1
	v_fmac_f32_e32 v12, v74, v0
	v_mul_f32_e32 v0, v75, v0
	v_fma_f32 v0, v74, v1, -v0
	v_cvt_f64_f32_e32 v[0:1], v0
	v_cvt_f64_f32_e32 v[12:13], v12
	v_cvt_f32_f64_e32 v6, v[6:7]
	v_cvt_f32_f64_e32 v7, v[10:11]
	v_mul_f64 v[0:1], v[0:1], s[0:1]
	v_mul_f64 v[10:11], v[12:13], s[0:1]
	v_mov_b32_e32 v12, s2
	v_add_co_u32_e32 v4, vcc, s3, v4
	v_addc_co_u32_e32 v5, vcc, v5, v12, vcc
	global_store_dwordx2 v[4:5], v[6:7], off
	v_cvt_f32_f64_e32 v7, v[0:1]
	v_mul_f32_e32 v0, v84, v3
	v_fmac_f32_e32 v0, v83, v2
	v_cvt_f32_f64_e32 v6, v[10:11]
	v_cvt_f64_f32_e32 v[10:11], v0
	v_mul_f32_e32 v0, v84, v2
	v_fma_f32 v0, v83, v3, -v0
	v_cvt_f64_f32_e32 v[12:13], v0
	ds_read2_b64 v[0:3], v100 offset0:189 offset1:216
	v_add_co_u32_e32 v4, vcc, s3, v4
	v_addc_co_u32_e32 v5, vcc, v5, v14, vcc
	global_store_dwordx2 v[4:5], v[6:7], off
	v_mul_f64 v[6:7], v[10:11], s[0:1]
	v_mul_f64 v[10:11], v[12:13], s[0:1]
	s_waitcnt lgkmcnt(0)
	v_mul_f32_e32 v12, v80, v1
	v_fmac_f32_e32 v12, v79, v0
	v_mul_f32_e32 v0, v80, v0
	v_fma_f32 v0, v79, v1, -v0
	v_cvt_f64_f32_e32 v[0:1], v0
	v_cvt_f64_f32_e32 v[12:13], v12
	v_cvt_f32_f64_e32 v6, v[6:7]
	v_cvt_f32_f64_e32 v7, v[10:11]
	v_mul_f64 v[0:1], v[0:1], s[0:1]
	v_mul_f64 v[10:11], v[12:13], s[0:1]
	v_mov_b32_e32 v12, s2
	v_add_co_u32_e32 v4, vcc, s3, v4
	v_addc_co_u32_e32 v5, vcc, v5, v12, vcc
	global_store_dwordx2 v[4:5], v[6:7], off
	v_cvt_f32_f64_e32 v7, v[0:1]
	v_mul_f32_e32 v0, v82, v3
	v_fmac_f32_e32 v0, v81, v2
	v_mul_f32_e32 v2, v82, v2
	v_fma_f32 v2, v81, v3, -v2
	v_cvt_f64_f32_e32 v[0:1], v0
	v_cvt_f64_f32_e32 v[2:3], v2
	v_cvt_f32_f64_e32 v6, v[10:11]
	v_mov_b32_e32 v10, s2
	v_add_co_u32_e32 v4, vcc, s3, v4
	v_addc_co_u32_e32 v5, vcc, v5, v10, vcc
	v_mul_f64 v[0:1], v[0:1], s[0:1]
	v_mul_f64 v[2:3], v[2:3], s[0:1]
	global_store_dwordx2 v[4:5], v[6:7], off
	v_mul_f32_e32 v6, v86, v9
	v_fmac_f32_e32 v6, v85, v8
	v_mul_f32_e32 v8, v86, v8
	v_fma_f32 v8, v85, v9, -v8
	v_cvt_f64_f32_e32 v[6:7], v6
	v_cvt_f64_f32_e32 v[8:9], v8
	v_cvt_f32_f64_e32 v0, v[0:1]
	v_cvt_f32_f64_e32 v1, v[2:3]
	v_mul_f64 v[2:3], v[6:7], s[0:1]
	v_mul_f64 v[6:7], v[8:9], s[0:1]
	v_mov_b32_e32 v8, s2
	v_add_co_u32_e32 v4, vcc, s3, v4
	v_addc_co_u32_e32 v5, vcc, v5, v8, vcc
	global_store_dwordx2 v[4:5], v[0:1], off
	v_cvt_f32_f64_e32 v0, v[2:3]
	v_cvt_f32_f64_e32 v1, v[6:7]
	v_mov_b32_e32 v3, s2
	v_add_co_u32_e32 v2, vcc, s3, v4
	v_addc_co_u32_e32 v3, vcc, v5, v3, vcc
	global_store_dwordx2 v[2:3], v[0:1], off
.LBB0_26:
	s_endpgm
	.section	.rodata,"a",@progbits
	.p2align	6, 0x0
	.amdhsa_kernel bluestein_single_fwd_len270_dim1_sp_op_CI_CI
		.amdhsa_group_segment_fixed_size 8640
		.amdhsa_private_segment_fixed_size 0
		.amdhsa_kernarg_size 104
		.amdhsa_user_sgpr_count 6
		.amdhsa_user_sgpr_private_segment_buffer 1
		.amdhsa_user_sgpr_dispatch_ptr 0
		.amdhsa_user_sgpr_queue_ptr 0
		.amdhsa_user_sgpr_kernarg_segment_ptr 1
		.amdhsa_user_sgpr_dispatch_id 0
		.amdhsa_user_sgpr_flat_scratch_init 0
		.amdhsa_user_sgpr_private_segment_size 0
		.amdhsa_uses_dynamic_stack 0
		.amdhsa_system_sgpr_private_segment_wavefront_offset 0
		.amdhsa_system_sgpr_workgroup_id_x 1
		.amdhsa_system_sgpr_workgroup_id_y 0
		.amdhsa_system_sgpr_workgroup_id_z 0
		.amdhsa_system_sgpr_workgroup_info 0
		.amdhsa_system_vgpr_workitem_id 0
		.amdhsa_next_free_vgpr 119
		.amdhsa_next_free_sgpr 20
		.amdhsa_reserve_vcc 1
		.amdhsa_reserve_flat_scratch 0
		.amdhsa_float_round_mode_32 0
		.amdhsa_float_round_mode_16_64 0
		.amdhsa_float_denorm_mode_32 3
		.amdhsa_float_denorm_mode_16_64 3
		.amdhsa_dx10_clamp 1
		.amdhsa_ieee_mode 1
		.amdhsa_fp16_overflow 0
		.amdhsa_exception_fp_ieee_invalid_op 0
		.amdhsa_exception_fp_denorm_src 0
		.amdhsa_exception_fp_ieee_div_zero 0
		.amdhsa_exception_fp_ieee_overflow 0
		.amdhsa_exception_fp_ieee_underflow 0
		.amdhsa_exception_fp_ieee_inexact 0
		.amdhsa_exception_int_div_zero 0
	.end_amdhsa_kernel
	.text
.Lfunc_end0:
	.size	bluestein_single_fwd_len270_dim1_sp_op_CI_CI, .Lfunc_end0-bluestein_single_fwd_len270_dim1_sp_op_CI_CI
                                        ; -- End function
	.section	.AMDGPU.csdata,"",@progbits
; Kernel info:
; codeLenInByte = 8940
; NumSgprs: 24
; NumVgprs: 119
; ScratchSize: 0
; MemoryBound: 0
; FloatMode: 240
; IeeeMode: 1
; LDSByteSize: 8640 bytes/workgroup (compile time only)
; SGPRBlocks: 2
; VGPRBlocks: 29
; NumSGPRsForWavesPerEU: 24
; NumVGPRsForWavesPerEU: 119
; Occupancy: 2
; WaveLimiterHint : 1
; COMPUTE_PGM_RSRC2:SCRATCH_EN: 0
; COMPUTE_PGM_RSRC2:USER_SGPR: 6
; COMPUTE_PGM_RSRC2:TRAP_HANDLER: 0
; COMPUTE_PGM_RSRC2:TGID_X_EN: 1
; COMPUTE_PGM_RSRC2:TGID_Y_EN: 0
; COMPUTE_PGM_RSRC2:TGID_Z_EN: 0
; COMPUTE_PGM_RSRC2:TIDIG_COMP_CNT: 0
	.type	__hip_cuid_d4e071204d0671a3,@object ; @__hip_cuid_d4e071204d0671a3
	.section	.bss,"aw",@nobits
	.globl	__hip_cuid_d4e071204d0671a3
__hip_cuid_d4e071204d0671a3:
	.byte	0                               ; 0x0
	.size	__hip_cuid_d4e071204d0671a3, 1

	.ident	"AMD clang version 19.0.0git (https://github.com/RadeonOpenCompute/llvm-project roc-6.4.0 25133 c7fe45cf4b819c5991fe208aaa96edf142730f1d)"
	.section	".note.GNU-stack","",@progbits
	.addrsig
	.addrsig_sym __hip_cuid_d4e071204d0671a3
	.amdgpu_metadata
---
amdhsa.kernels:
  - .args:
      - .actual_access:  read_only
        .address_space:  global
        .offset:         0
        .size:           8
        .value_kind:     global_buffer
      - .actual_access:  read_only
        .address_space:  global
        .offset:         8
        .size:           8
        .value_kind:     global_buffer
      - .actual_access:  read_only
        .address_space:  global
        .offset:         16
        .size:           8
        .value_kind:     global_buffer
      - .actual_access:  read_only
        .address_space:  global
        .offset:         24
        .size:           8
        .value_kind:     global_buffer
      - .actual_access:  read_only
        .address_space:  global
        .offset:         32
        .size:           8
        .value_kind:     global_buffer
      - .offset:         40
        .size:           8
        .value_kind:     by_value
      - .address_space:  global
        .offset:         48
        .size:           8
        .value_kind:     global_buffer
      - .address_space:  global
        .offset:         56
        .size:           8
        .value_kind:     global_buffer
      - .address_space:  global
        .offset:         64
        .size:           8
        .value_kind:     global_buffer
      - .address_space:  global
        .offset:         72
        .size:           8
        .value_kind:     global_buffer
      - .offset:         80
        .size:           4
        .value_kind:     by_value
      - .address_space:  global
        .offset:         88
        .size:           8
        .value_kind:     global_buffer
      - .address_space:  global
        .offset:         96
        .size:           8
        .value_kind:     global_buffer
    .group_segment_fixed_size: 8640
    .kernarg_segment_align: 8
    .kernarg_segment_size: 104
    .language:       OpenCL C
    .language_version:
      - 2
      - 0
    .max_flat_workgroup_size: 108
    .name:           bluestein_single_fwd_len270_dim1_sp_op_CI_CI
    .private_segment_fixed_size: 0
    .sgpr_count:     24
    .sgpr_spill_count: 0
    .symbol:         bluestein_single_fwd_len270_dim1_sp_op_CI_CI.kd
    .uniform_work_group_size: 1
    .uses_dynamic_stack: false
    .vgpr_count:     119
    .vgpr_spill_count: 0
    .wavefront_size: 64
amdhsa.target:   amdgcn-amd-amdhsa--gfx906
amdhsa.version:
  - 1
  - 2
...

	.end_amdgpu_metadata
